;; amdgpu-corpus repo=ROCm/rocFFT kind=compiled arch=gfx906 opt=O3
	.text
	.amdgcn_target "amdgcn-amd-amdhsa--gfx906"
	.amdhsa_code_object_version 6
	.protected	fft_rtc_fwd_len819_factors_9_7_13_wgs_117_tpt_117_half_ip_CI_sbrr_dirReg ; -- Begin function fft_rtc_fwd_len819_factors_9_7_13_wgs_117_tpt_117_half_ip_CI_sbrr_dirReg
	.globl	fft_rtc_fwd_len819_factors_9_7_13_wgs_117_tpt_117_half_ip_CI_sbrr_dirReg
	.p2align	8
	.type	fft_rtc_fwd_len819_factors_9_7_13_wgs_117_tpt_117_half_ip_CI_sbrr_dirReg,@function
fft_rtc_fwd_len819_factors_9_7_13_wgs_117_tpt_117_half_ip_CI_sbrr_dirReg: ; @fft_rtc_fwd_len819_factors_9_7_13_wgs_117_tpt_117_half_ip_CI_sbrr_dirReg
; %bb.0:
	s_load_dwordx2 s[2:3], s[4:5], 0x18
	s_load_dwordx4 s[8:11], s[4:5], 0x0
	s_load_dwordx2 s[14:15], s[4:5], 0x50
	v_mul_u32_u24_e32 v1, 0x231, v0
	v_add_u32_sdwa v5, s6, v1 dst_sel:DWORD dst_unused:UNUSED_PAD src0_sel:DWORD src1_sel:WORD_1
	s_waitcnt lgkmcnt(0)
	s_load_dwordx2 s[12:13], s[2:3], 0x0
	v_cmp_lt_u64_e64 s[0:1], s[10:11], 2
	v_mov_b32_e32 v3, 0
	v_mov_b32_e32 v1, 0
	;; [unrolled: 1-line block ×3, first 2 shown]
	s_and_b64 vcc, exec, s[0:1]
	v_mov_b32_e32 v2, 0
	s_cbranch_vccnz .LBB0_8
; %bb.1:
	s_load_dwordx2 s[0:1], s[4:5], 0x10
	s_add_u32 s6, s2, 8
	s_addc_u32 s7, s3, 0
	v_mov_b32_e32 v1, 0
	v_mov_b32_e32 v2, 0
	s_waitcnt lgkmcnt(0)
	s_add_u32 s16, s0, 8
	s_addc_u32 s17, s1, 0
	s_mov_b64 s[18:19], 1
.LBB0_2:                                ; =>This Inner Loop Header: Depth=1
	s_load_dwordx2 s[20:21], s[16:17], 0x0
                                        ; implicit-def: $vgpr7_vgpr8
	s_waitcnt lgkmcnt(0)
	v_or_b32_e32 v4, s21, v6
	v_cmp_ne_u64_e32 vcc, 0, v[3:4]
	s_and_saveexec_b64 s[0:1], vcc
	s_xor_b64 s[22:23], exec, s[0:1]
	s_cbranch_execz .LBB0_4
; %bb.3:                                ;   in Loop: Header=BB0_2 Depth=1
	v_cvt_f32_u32_e32 v4, s20
	v_cvt_f32_u32_e32 v7, s21
	s_sub_u32 s0, 0, s20
	s_subb_u32 s1, 0, s21
	v_mac_f32_e32 v4, 0x4f800000, v7
	v_rcp_f32_e32 v4, v4
	v_mul_f32_e32 v4, 0x5f7ffffc, v4
	v_mul_f32_e32 v7, 0x2f800000, v4
	v_trunc_f32_e32 v7, v7
	v_mac_f32_e32 v4, 0xcf800000, v7
	v_cvt_u32_f32_e32 v7, v7
	v_cvt_u32_f32_e32 v4, v4
	v_mul_lo_u32 v8, s0, v7
	v_mul_hi_u32 v9, s0, v4
	v_mul_lo_u32 v11, s1, v4
	v_mul_lo_u32 v10, s0, v4
	v_add_u32_e32 v8, v9, v8
	v_add_u32_e32 v8, v8, v11
	v_mul_hi_u32 v9, v4, v10
	v_mul_lo_u32 v11, v4, v8
	v_mul_hi_u32 v13, v4, v8
	v_mul_hi_u32 v12, v7, v10
	v_mul_lo_u32 v10, v7, v10
	v_mul_hi_u32 v14, v7, v8
	v_add_co_u32_e32 v9, vcc, v9, v11
	v_addc_co_u32_e32 v11, vcc, 0, v13, vcc
	v_mul_lo_u32 v8, v7, v8
	v_add_co_u32_e32 v9, vcc, v9, v10
	v_addc_co_u32_e32 v9, vcc, v11, v12, vcc
	v_addc_co_u32_e32 v10, vcc, 0, v14, vcc
	v_add_co_u32_e32 v8, vcc, v9, v8
	v_addc_co_u32_e32 v9, vcc, 0, v10, vcc
	v_add_co_u32_e32 v4, vcc, v4, v8
	v_addc_co_u32_e32 v7, vcc, v7, v9, vcc
	v_mul_lo_u32 v8, s0, v7
	v_mul_hi_u32 v9, s0, v4
	v_mul_lo_u32 v10, s1, v4
	v_mul_lo_u32 v11, s0, v4
	v_add_u32_e32 v8, v9, v8
	v_add_u32_e32 v8, v8, v10
	v_mul_lo_u32 v12, v4, v8
	v_mul_hi_u32 v13, v4, v11
	v_mul_hi_u32 v14, v4, v8
	;; [unrolled: 1-line block ×3, first 2 shown]
	v_mul_lo_u32 v11, v7, v11
	v_mul_hi_u32 v9, v7, v8
	v_add_co_u32_e32 v12, vcc, v13, v12
	v_addc_co_u32_e32 v13, vcc, 0, v14, vcc
	v_mul_lo_u32 v8, v7, v8
	v_add_co_u32_e32 v11, vcc, v12, v11
	v_addc_co_u32_e32 v10, vcc, v13, v10, vcc
	v_addc_co_u32_e32 v9, vcc, 0, v9, vcc
	v_add_co_u32_e32 v8, vcc, v10, v8
	v_addc_co_u32_e32 v9, vcc, 0, v9, vcc
	v_add_co_u32_e32 v4, vcc, v4, v8
	v_addc_co_u32_e32 v9, vcc, v7, v9, vcc
	v_mad_u64_u32 v[7:8], s[0:1], v5, v9, 0
	v_mul_hi_u32 v10, v5, v4
	v_add_co_u32_e32 v11, vcc, v10, v7
	v_addc_co_u32_e32 v12, vcc, 0, v8, vcc
	v_mad_u64_u32 v[7:8], s[0:1], v6, v4, 0
	v_mad_u64_u32 v[9:10], s[0:1], v6, v9, 0
	v_add_co_u32_e32 v4, vcc, v11, v7
	v_addc_co_u32_e32 v4, vcc, v12, v8, vcc
	v_addc_co_u32_e32 v7, vcc, 0, v10, vcc
	v_add_co_u32_e32 v4, vcc, v4, v9
	v_addc_co_u32_e32 v9, vcc, 0, v7, vcc
	v_mul_lo_u32 v10, s21, v4
	v_mul_lo_u32 v11, s20, v9
	v_mad_u64_u32 v[7:8], s[0:1], s20, v4, 0
	v_add3_u32 v8, v8, v11, v10
	v_sub_u32_e32 v10, v6, v8
	v_mov_b32_e32 v11, s21
	v_sub_co_u32_e32 v7, vcc, v5, v7
	v_subb_co_u32_e64 v10, s[0:1], v10, v11, vcc
	v_subrev_co_u32_e64 v11, s[0:1], s20, v7
	v_subbrev_co_u32_e64 v10, s[0:1], 0, v10, s[0:1]
	v_cmp_le_u32_e64 s[0:1], s21, v10
	v_cndmask_b32_e64 v12, 0, -1, s[0:1]
	v_cmp_le_u32_e64 s[0:1], s20, v11
	v_cndmask_b32_e64 v11, 0, -1, s[0:1]
	v_cmp_eq_u32_e64 s[0:1], s21, v10
	v_cndmask_b32_e64 v10, v12, v11, s[0:1]
	v_add_co_u32_e64 v11, s[0:1], 2, v4
	v_addc_co_u32_e64 v12, s[0:1], 0, v9, s[0:1]
	v_add_co_u32_e64 v13, s[0:1], 1, v4
	v_addc_co_u32_e64 v14, s[0:1], 0, v9, s[0:1]
	v_subb_co_u32_e32 v8, vcc, v6, v8, vcc
	v_cmp_ne_u32_e64 s[0:1], 0, v10
	v_cmp_le_u32_e32 vcc, s21, v8
	v_cndmask_b32_e64 v10, v14, v12, s[0:1]
	v_cndmask_b32_e64 v12, 0, -1, vcc
	v_cmp_le_u32_e32 vcc, s20, v7
	v_cndmask_b32_e64 v7, 0, -1, vcc
	v_cmp_eq_u32_e32 vcc, s21, v8
	v_cndmask_b32_e32 v7, v12, v7, vcc
	v_cmp_ne_u32_e32 vcc, 0, v7
	v_cndmask_b32_e64 v7, v13, v11, s[0:1]
	v_cndmask_b32_e32 v8, v9, v10, vcc
	v_cndmask_b32_e32 v7, v4, v7, vcc
.LBB0_4:                                ;   in Loop: Header=BB0_2 Depth=1
	s_andn2_saveexec_b64 s[0:1], s[22:23]
	s_cbranch_execz .LBB0_6
; %bb.5:                                ;   in Loop: Header=BB0_2 Depth=1
	v_cvt_f32_u32_e32 v4, s20
	s_sub_i32 s22, 0, s20
	v_rcp_iflag_f32_e32 v4, v4
	v_mul_f32_e32 v4, 0x4f7ffffe, v4
	v_cvt_u32_f32_e32 v4, v4
	v_mul_lo_u32 v7, s22, v4
	v_mul_hi_u32 v7, v4, v7
	v_add_u32_e32 v4, v4, v7
	v_mul_hi_u32 v4, v5, v4
	v_mul_lo_u32 v7, v4, s20
	v_add_u32_e32 v8, 1, v4
	v_sub_u32_e32 v7, v5, v7
	v_subrev_u32_e32 v9, s20, v7
	v_cmp_le_u32_e32 vcc, s20, v7
	v_cndmask_b32_e32 v7, v7, v9, vcc
	v_cndmask_b32_e32 v4, v4, v8, vcc
	v_add_u32_e32 v8, 1, v4
	v_cmp_le_u32_e32 vcc, s20, v7
	v_cndmask_b32_e32 v7, v4, v8, vcc
	v_mov_b32_e32 v8, v3
.LBB0_6:                                ;   in Loop: Header=BB0_2 Depth=1
	s_or_b64 exec, exec, s[0:1]
	v_mul_lo_u32 v4, v8, s20
	v_mul_lo_u32 v11, v7, s21
	v_mad_u64_u32 v[9:10], s[0:1], v7, s20, 0
	s_load_dwordx2 s[0:1], s[6:7], 0x0
	s_add_u32 s18, s18, 1
	v_add3_u32 v4, v10, v11, v4
	v_sub_co_u32_e32 v5, vcc, v5, v9
	v_subb_co_u32_e32 v4, vcc, v6, v4, vcc
	s_waitcnt lgkmcnt(0)
	v_mul_lo_u32 v4, s0, v4
	v_mul_lo_u32 v6, s1, v5
	v_mad_u64_u32 v[1:2], s[0:1], s0, v5, v[1:2]
	s_addc_u32 s19, s19, 0
	s_add_u32 s6, s6, 8
	v_add3_u32 v2, v6, v2, v4
	v_mov_b32_e32 v4, s10
	v_mov_b32_e32 v5, s11
	s_addc_u32 s7, s7, 0
	v_cmp_ge_u64_e32 vcc, s[18:19], v[4:5]
	s_add_u32 s16, s16, 8
	s_addc_u32 s17, s17, 0
	s_cbranch_vccnz .LBB0_9
; %bb.7:                                ;   in Loop: Header=BB0_2 Depth=1
	v_mov_b32_e32 v5, v7
	v_mov_b32_e32 v6, v8
	s_branch .LBB0_2
.LBB0_8:
	v_mov_b32_e32 v8, v6
	v_mov_b32_e32 v7, v5
.LBB0_9:
	s_lshl_b64 s[0:1], s[10:11], 3
	s_add_u32 s0, s2, s0
	s_addc_u32 s1, s3, s1
	s_load_dwordx2 s[2:3], s[0:1], 0x0
	s_load_dwordx2 s[6:7], s[4:5], 0x20
	v_mov_b32_e32 v6, 0
                                        ; implicit-def: $vgpr10
                                        ; implicit-def: $vgpr9
                                        ; implicit-def: $vgpr11
	s_waitcnt lgkmcnt(0)
	v_mad_u64_u32 v[2:3], s[0:1], s2, v7, v[1:2]
	s_mov_b32 s0, 0x2302303
	v_mul_hi_u32 v1, v0, s0
	v_mul_lo_u32 v4, s2, v8
	v_mul_lo_u32 v5, s3, v7
	v_cmp_gt_u64_e32 vcc, s[6:7], v[7:8]
	v_mul_u32_u24_e32 v1, 0x75, v1
	v_sub_u32_e32 v26, v0, v1
	v_add3_u32 v3, v5, v3, v4
	s_movk_i32 s0, 0x5b
	v_cmp_gt_u32_e64 s[0:1], s0, v26
	v_lshlrev_b64 v[12:13], 2, v[2:3]
	s_and_b64 s[2:3], vcc, s[0:1]
	v_mov_b32_e32 v1, 0
	v_mov_b32_e32 v5, 0
	;; [unrolled: 1-line block ×3, first 2 shown]
                                        ; implicit-def: $vgpr0
                                        ; implicit-def: $vgpr2
	s_and_saveexec_b64 s[4:5], s[2:3]
	s_cbranch_execz .LBB0_11
; %bb.10:
	v_mad_u64_u32 v[0:1], s[2:3], s12, v26, 0
	v_add_u32_e32 v5, 0x5b, v26
	v_mov_b32_e32 v4, s15
	v_mad_u64_u32 v[1:2], s[2:3], s13, v26, v[1:2]
	v_mad_u64_u32 v[2:3], s[2:3], s12, v5, 0
	v_add_co_u32_e64 v8, s[2:3], s14, v12
	v_addc_co_u32_e64 v9, s[2:3], v4, v13, s[2:3]
	v_mad_u64_u32 v[3:4], s[2:3], s13, v5, v[3:4]
	v_add_u32_e32 v6, 0xb6, v26
	v_mad_u64_u32 v[4:5], s[2:3], s12, v6, 0
	v_lshlrev_b64 v[0:1], 2, v[0:1]
	v_add_co_u32_e64 v14, s[2:3], v8, v0
	v_addc_co_u32_e64 v15, s[2:3], v9, v1, s[2:3]
	v_lshlrev_b64 v[0:1], 2, v[2:3]
	v_mov_b32_e32 v2, v5
	v_mad_u64_u32 v[2:3], s[2:3], s13, v6, v[2:3]
	v_add_u32_e32 v3, 0x111, v26
	v_mad_u64_u32 v[6:7], s[2:3], s12, v3, 0
	v_add_co_u32_e64 v16, s[2:3], v8, v0
	v_mov_b32_e32 v5, v2
	v_mov_b32_e32 v2, v7
	v_addc_co_u32_e64 v17, s[2:3], v9, v1, s[2:3]
	v_lshlrev_b64 v[0:1], 2, v[4:5]
	v_mad_u64_u32 v[2:3], s[2:3], s13, v3, v[2:3]
	v_add_u32_e32 v5, 0x16c, v26
	v_mad_u64_u32 v[3:4], s[2:3], s12, v5, 0
	v_add_co_u32_e64 v18, s[2:3], v8, v0
	v_mov_b32_e32 v7, v2
	v_mov_b32_e32 v2, v4
	v_addc_co_u32_e64 v19, s[2:3], v9, v1, s[2:3]
	v_lshlrev_b64 v[0:1], 2, v[6:7]
	v_mad_u64_u32 v[4:5], s[2:3], s13, v5, v[2:3]
	v_add_u32_e32 v7, 0x1c7, v26
	v_mad_u64_u32 v[5:6], s[2:3], s12, v7, 0
	v_add_co_u32_e64 v20, s[2:3], v8, v0
	v_mov_b32_e32 v2, v6
	v_addc_co_u32_e64 v21, s[2:3], v9, v1, s[2:3]
	v_lshlrev_b64 v[0:1], 2, v[3:4]
	v_mad_u64_u32 v[2:3], s[2:3], s13, v7, v[2:3]
	v_add_u32_e32 v7, 0x222, v26
	v_mad_u64_u32 v[3:4], s[2:3], s12, v7, 0
	v_add_co_u32_e64 v22, s[2:3], v8, v0
	v_mov_b32_e32 v6, v2
	v_mov_b32_e32 v2, v4
	v_addc_co_u32_e64 v23, s[2:3], v9, v1, s[2:3]
	v_lshlrev_b64 v[0:1], 2, v[5:6]
	v_mad_u64_u32 v[4:5], s[2:3], s13, v7, v[2:3]
	v_add_u32_e32 v7, 0x27d, v26
	v_mad_u64_u32 v[5:6], s[2:3], s12, v7, 0
	v_add_co_u32_e64 v24, s[2:3], v8, v0
	v_mov_b32_e32 v2, v6
	v_addc_co_u32_e64 v25, s[2:3], v9, v1, s[2:3]
	v_lshlrev_b64 v[0:1], 2, v[3:4]
	v_mad_u64_u32 v[2:3], s[2:3], s13, v7, v[2:3]
	v_add_u32_e32 v7, 0x2d8, v26
	v_mad_u64_u32 v[3:4], s[2:3], s12, v7, 0
	v_add_co_u32_e64 v27, s[2:3], v8, v0
	v_mov_b32_e32 v6, v2
	v_mov_b32_e32 v2, v4
	v_addc_co_u32_e64 v28, s[2:3], v9, v1, s[2:3]
	v_lshlrev_b64 v[0:1], 2, v[5:6]
	v_mad_u64_u32 v[4:5], s[2:3], s13, v7, v[2:3]
	v_add_co_u32_e64 v29, s[2:3], v8, v0
	v_addc_co_u32_e64 v30, s[2:3], v9, v1, s[2:3]
	v_lshlrev_b64 v[0:1], 2, v[3:4]
	v_add_co_u32_e64 v3, s[2:3], v8, v0
	v_addc_co_u32_e64 v4, s[2:3], v9, v1, s[2:3]
	global_load_dword v0, v[14:15], off
	global_load_dword v5, v[16:17], off
	global_load_dword v6, v[18:19], off
	global_load_dword v8, v[20:21], off
	global_load_dword v1, v[22:23], off
	global_load_dword v2, v[24:25], off
	global_load_dword v9, v[27:28], off
	global_load_dword v11, v[29:30], off
	global_load_dword v10, v[3:4], off
.LBB0_11:
	s_or_b64 exec, exec, s[4:5]
	s_waitcnt vmcnt(0)
	v_pk_add_f16 v3, v5, v10
	v_pk_add_f16 v4, v6, v11
	v_pk_add_f16 v5, v5, v10 neg_lo:[0,1] neg_hi:[0,1]
	v_pk_add_f16 v6, v6, v11 neg_lo:[0,1] neg_hi:[0,1]
	s_movk_i32 s2, 0x3924
	v_pk_add_f16 v7, v8, v9
	v_pk_add_f16 v17, v8, v9 neg_lo:[0,1] neg_hi:[0,1]
	v_mul_f16_sdwa v9, v5, s2 dst_sel:DWORD dst_unused:UNUSED_PAD src0_sel:WORD_1 src1_sel:DWORD
	v_lshrrev_b32_e32 v10, 16, v6
	s_movk_i32 s2, 0x3be1
	s_movk_i32 s4, 0x3a21
	v_mul_f16_e32 v8, 0x3924, v5
	v_fma_f16 v14, v10, s2, v9
	v_fma_f16 v10, v3, s4, v0
	s_movk_i32 s5, 0x318f
	s_movk_i32 s10, 0x3aee
	v_fma_f16 v11, v6, s2, v8
	v_lshrrev_b32_e32 v9, 16, v3
	v_lshrrev_b32_e32 v16, 16, v0
	v_fma_f16 v18, v4, s5, v10
	v_pk_mul_f16 v10, v17, s10 op_sel_hi:[1,0]
	v_pk_add_f16 v8, v1, v2 neg_lo:[0,1] neg_hi:[0,1]
	v_fma_f16 v9, v9, s4, v16
	v_lshrrev_b32_e32 v16, 16, v4
	v_add_f16_e32 v11, v10, v11
	s_movk_i32 s6, 0x3579
	v_lshrrev_b32_e32 v15, 16, v8
	v_fma_f16 v16, v16, s5, v9
	v_pk_add_f16 v9, v1, v2
	v_add_f16_sdwa v14, v10, v14 dst_sel:DWORD dst_unused:UNUSED_PAD src0_sel:WORD_1 src1_sel:DWORD
	v_fma_f16 v20, v8, s6, v11
	v_pk_mul_f16 v11, v7, 0.5 op_sel_hi:[1,0]
	s_mov_b32 s11, 0xb924
	v_lshrrev_b32_e32 v19, 16, v9
	v_fma_f16 v14, v15, s6, v14
	v_sub_f16_e32 v15, v18, v11
	v_sub_f16_sdwa v16, v16, v11 dst_sel:DWORD dst_unused:UNUSED_PAD src0_sel:DWORD src1_sel:WORD_1
	s_mov_b32 s7, 0xbb84
	v_pk_mul_f16 v18, v8, s11 op_sel_hi:[1,0]
	v_fma_f16 v16, v19, s7, v16
	v_pk_fma_f16 v18, v5, s2, v18 op_sel_hi:[1,0,1]
	v_sub_f16_e32 v16, v16, v20
	v_pk_fma_f16 v17, v17, s10, v18 op_sel_hi:[1,0,1] neg_lo:[1,0,0] neg_hi:[1,0,0]
	v_fma_f16 v28, v20, 2.0, v16
	v_pk_fma_f16 v20, v6, s6, v17 op_sel_hi:[1,0,1]
	v_pk_fma_f16 v17, v9, s4, v0 op_sel_hi:[1,0,1]
	;; [unrolled: 1-line block ×3, first 2 shown]
	v_pk_fma_f16 v17, v7, 0.5, v17 op_sel_hi:[1,0,1] neg_lo:[1,0,0] neg_hi:[1,0,0]
	v_pk_fma_f16 v17, v4, s7, v17 op_sel_hi:[1,0,1]
	v_fma_f16 v15, v9, s7, v15
	v_pk_add_f16 v19, v17, v20 op_sel:[0,1] op_sel_hi:[1,0] neg_lo:[0,1] neg_hi:[0,1]
	v_add_f16_e32 v15, v14, v15
	v_pk_add_f16 v18, v17, v20 op_sel:[0,1] op_sel_hi:[1,0]
	v_lshrrev_b32_e32 v17, 16, v20
	v_lshrrev_b32_e32 v21, 16, v19
	v_fma_f16 v14, v14, -2.0, v15
	v_fma_f16 v17, v17, -2.0, v18
	v_fma_f16 v29, v20, 2.0, v21
	s_and_saveexec_b64 s[2:3], s[0:1]
	s_cbranch_execz .LBB0_13
; %bb.12:
	v_pk_add_f16 v20, v4, v3
	v_pk_add_f16 v21, v7, v20
	;; [unrolled: 1-line block ×3, first 2 shown]
	s_mov_b32 s0, 0xffff
	v_pk_add_f16 v1, v2, v1
	s_mov_b32 s1, 0x5040100
	v_bfi_b32 v18, s0, v18, v19
	v_mad_u32_u24 v19, v26, 36, 0
	v_pk_add_f16 v1, v0, v1
	v_perm_b32 v2, v16, v15, s1
	ds_write2_b32 v19, v1, v2 offset1:1
	v_pk_add_f16 v1, v8, v5
	v_pk_add_f16 v1, v1, v6 neg_lo:[0,1] neg_hi:[0,1]
	v_pk_add_f16 v2, v0, v7
	v_pk_add_f16 v7, v9, v20
	v_pk_mul_f16 v1, v1, s10 op_sel_hi:[1,0]
	v_pk_fma_f16 v2, v7, -0.5, v2 op_sel_hi:[1,0,1]
	v_pk_add_f16 v7, v2, v1 op_sel:[0,1] op_sel_hi:[1,0]
	v_pk_add_f16 v2, v2, v1 op_sel:[0,1] op_sel_hi:[1,0] neg_lo:[0,1] neg_hi:[0,1]
	s_mov_b32 s10, 0xbbe1
	v_bfi_b32 v2, s0, v7, v2
	v_pk_mul_f16 v7, v8, s10 op_sel_hi:[1,0]
	v_pk_fma_f16 v0, v4, s4, v0 op_sel_hi:[1,0,1]
	v_pk_fma_f16 v6, v6, s11, v7 op_sel_hi:[1,0,1]
	;; [unrolled: 1-line block ×3, first 2 shown]
	v_pk_add_f16 v6, v10, v6
	v_pk_add_f16 v0, v0, v11 neg_lo:[0,1] neg_hi:[0,1]
	v_pk_fma_f16 v5, v5, s6, v6 op_sel_hi:[1,0,1]
	v_pk_fma_f16 v0, v3, s7, v0 op_sel_hi:[1,0,1]
	v_pk_add_f16 v3, v0, v5 op_sel:[0,1] op_sel_hi:[1,0]
	v_pk_add_f16 v0, v0, v5 op_sel:[0,1] op_sel_hi:[1,0] neg_lo:[0,1] neg_hi:[0,1]
	v_bfi_b32 v0, s0, v3, v0
	ds_write_b32 v19, v0 offset:16
	v_pk_fma_f16 v3, v5, 2.0, v0 op_sel:[1,0,0] op_sel_hi:[0,0,1] neg_lo:[1,0,0] neg_hi:[1,0,0]
	v_pk_fma_f16 v4, v1, 2.0, v2 op_sel:[1,0,0] op_sel_hi:[0,0,1] neg_lo:[1,0,0] neg_hi:[1,0,0]
	v_pk_fma_f16 v0, v5, 2.0, v0 op_sel:[1,0,0] op_sel_hi:[0,0,1]
	v_pk_fma_f16 v1, v1, 2.0, v2 op_sel:[1,0,0] op_sel_hi:[0,0,1]
	v_bfi_b32 v1, s0, v4, v1
	v_bfi_b32 v0, s0, v3, v0
	ds_write2_b32 v19, v0, v1 offset0:5 offset1:6
	v_perm_b32 v0, v28, v14, s1
	v_perm_b32 v1, v29, v17, s1
	ds_write2_b32 v19, v18, v2 offset0:2 offset1:3
	ds_write2_b32 v19, v1, v0 offset0:7 offset1:8
.LBB0_13:
	s_or_b64 exec, exec, s[2:3]
	v_mov_b32_e32 v0, 57
	v_mul_lo_u16_sdwa v0, v26, v0 dst_sel:DWORD dst_unused:UNUSED_PAD src0_sel:BYTE_0 src1_sel:DWORD
	v_lshrrev_b16_e32 v11, 9, v0
	v_mul_lo_u16_e32 v0, 9, v11
	v_sub_u16_e32 v24, v26, v0
	v_mov_b32_e32 v0, 6
	v_mul_u32_u24_sdwa v0, v24, v0 dst_sel:DWORD dst_unused:UNUSED_PAD src0_sel:BYTE_0 src1_sel:DWORD
	v_lshlrev_b32_e32 v0, 2, v0
	s_waitcnt lgkmcnt(0)
	s_barrier
	global_load_dwordx4 v[3:6], v0, s[8:9]
	global_load_dwordx2 v[7:8], v0, s[8:9] offset:16
	v_lshl_add_u32 v0, v26, 2, 0
	ds_read2_b32 v[9:10], v0 offset1:117
	v_add_u32_e32 v2, 0x200, v0
	v_add_u32_e32 v1, 0x600, v0
	ds_read2_b32 v[15:16], v2 offset0:106 offset1:223
	ds_read2_b32 v[18:19], v1 offset0:84 offset1:201
	ds_read_u16 v20, v0 offset:2810
	ds_read_b32 v21, v0 offset:2808
	s_movk_i32 s0, 0x2b26
	s_waitcnt lgkmcnt(4)
	v_lshrrev_b32_e32 v22, 16, v10
	s_waitcnt lgkmcnt(3)
	v_lshrrev_b32_e32 v23, 16, v15
	v_lshrrev_b32_e32 v25, 16, v16
	s_waitcnt lgkmcnt(2)
	v_lshrrev_b32_e32 v27, 16, v18
	v_lshrrev_b32_e32 v30, 16, v19
	s_movk_i32 s1, 0x39e0
	s_mov_b32 s2, 0xb9e0
	s_movk_i32 s3, 0x3b00
	s_waitcnt vmcnt(0) lgkmcnt(0)
	s_barrier
	v_mul_f16_sdwa v31, v4, v23 dst_sel:DWORD dst_unused:UNUSED_PAD src0_sel:WORD_1 src1_sel:DWORD
	v_mul_f16_sdwa v32, v4, v15 dst_sel:DWORD dst_unused:UNUSED_PAD src0_sel:WORD_1 src1_sel:DWORD
	;; [unrolled: 1-line block ×10, first 2 shown]
	v_mul_f16_sdwa v41, v20, v8 dst_sel:DWORD dst_unused:UNUSED_PAD src0_sel:DWORD src1_sel:WORD_1
	v_mul_f16_sdwa v42, v8, v21 dst_sel:DWORD dst_unused:UNUSED_PAD src0_sel:WORD_1 src1_sel:DWORD
	v_fma_f16 v15, v4, v15, -v31
	v_fma_f16 v16, v5, v16, -v33
	v_fma_f16 v4, v4, v23, v32
	v_fma_f16 v22, v3, v22, v35
	;; [unrolled: 1-line block ×4, first 2 shown]
	v_fma_f16 v3, v3, v10, -v36
	v_fma_f16 v6, v6, v18, -v38
	;; [unrolled: 1-line block ×3, first 2 shown]
	v_fma_f16 v7, v7, v30, v40
	v_fma_f16 v18, v8, v21, -v41
	v_fma_f16 v8, v20, v8, v42
	v_add_f16_e32 v19, v3, v18
	v_add_f16_e32 v20, v22, v8
	v_sub_f16_e32 v3, v3, v18
	v_add_f16_e32 v18, v15, v10
	v_add_f16_e32 v21, v4, v7
	v_sub_f16_e32 v10, v15, v10
	v_sub_f16_e32 v4, v4, v7
	v_add_f16_e32 v7, v16, v6
	v_add_f16_e32 v15, v5, v23
	v_sub_f16_e32 v8, v22, v8
	v_sub_f16_e32 v6, v6, v16
	;; [unrolled: 1-line block ×3, first 2 shown]
	v_add_f16_e32 v16, v18, v19
	v_add_f16_e32 v22, v21, v20
	v_sub_f16_e32 v23, v18, v19
	v_sub_f16_e32 v25, v21, v20
	;; [unrolled: 1-line block ×6, first 2 shown]
	v_add_f16_e32 v18, v6, v10
	v_add_f16_e32 v27, v5, v4
	v_sub_f16_e32 v31, v6, v10
	v_sub_f16_e32 v32, v5, v4
	v_sub_f16_e32 v10, v10, v3
	v_add_f16_e32 v7, v7, v16
	v_add_f16_e32 v15, v15, v22
	v_mul_f16_e32 v16, 0x3a52, v19
	v_mul_f16_e32 v19, 0x3a52, v20
	;; [unrolled: 1-line block ×4, first 2 shown]
	v_sub_f16_e32 v6, v3, v6
	v_sub_f16_e32 v5, v8, v5
	;; [unrolled: 1-line block ×3, first 2 shown]
	v_add_f16_e32 v3, v18, v3
	v_add_f16_e32 v8, v27, v8
	v_add_f16_sdwa v27, v15, v9 dst_sel:DWORD dst_unused:UNUSED_PAD src0_sel:DWORD src1_sel:WORD_1
	v_add_f16_e32 v18, v7, v9
	v_fma_f16 v9, v30, s0, v16
	v_fma_f16 v20, v23, s1, -v20
	v_fma_f16 v16, v23, s2, -v16
	v_mul_f16_e32 v23, 0xb846, v31
	v_mul_f16_e32 v30, 0xb846, v32
	v_fma_f16 v21, v21, s0, v19
	v_fma_f16 v22, v25, s1, -v22
	v_fma_f16 v19, v25, s2, -v19
	v_mul_f16_e32 v25, 0x3b00, v10
	s_movk_i32 s0, 0x3574
	s_mov_b32 s1, 0xb574
	s_mov_b32 s2, 0xbcab
	v_fma_f16 v10, v10, s3, -v23
	v_fma_f16 v23, v6, s0, v23
	v_fma_f16 v6, v6, s1, -v25
	v_mul_f16_e32 v25, 0x3b00, v4
	v_fma_f16 v7, v7, s2, v18
	v_fma_f16 v4, v4, s3, -v30
	v_fma_f16 v30, v5, s0, v30
	s_movk_i32 s0, 0x370e
	v_fma_f16 v15, v15, s2, v27
	v_add_f16_e32 v20, v20, v7
	v_fma_f16 v4, v8, s0, v4
	v_fma_f16 v5, v5, s1, -v25
	v_add_f16_e32 v9, v9, v7
	v_add_f16_e32 v25, v21, v15
	;; [unrolled: 1-line block ×5, first 2 shown]
	v_fma_f16 v31, v3, s0, v23
	v_fma_f16 v16, v8, s0, v30
	;; [unrolled: 1-line block ×4, first 2 shown]
	v_sub_f16_e32 v23, v20, v4
	v_add_f16_e32 v20, v4, v20
	v_mov_b32_e32 v4, 2
	v_fma_f16 v5, v8, s0, v5
	v_add_f16_e32 v19, v16, v9
	v_sub_f16_e32 v30, v25, v31
	v_sub_f16_e32 v33, v15, v3
	v_add_f16_e32 v34, v3, v15
	v_mul_u32_u24_e32 v3, 0xfc, v11
	v_lshlrev_b32_sdwa v4, v4, v24 dst_sel:DWORD dst_unused:UNUSED_PAD src0_sel:DWORD src1_sel:BYTE_0
	v_add_f16_e32 v22, v5, v7
	v_add_f16_e32 v36, v10, v21
	v_sub_f16_e32 v32, v21, v10
	v_sub_f16_e32 v21, v7, v5
	v_add3_u32 v3, 0, v3, v4
	v_pack_b32_f16 v4, v18, v27
	v_pack_b32_f16 v5, v19, v30
	ds_write2_b32 v3, v4, v5 offset1:9
	v_pack_b32_f16 v4, v22, v33
	v_pack_b32_f16 v5, v23, v36
	v_sub_f16_e32 v16, v9, v16
	v_add_f16_e32 v35, v31, v25
	ds_write2_b32 v3, v4, v5 offset0:18 offset1:27
	v_pack_b32_f16 v4, v20, v32
	v_pack_b32_f16 v5, v21, v34
	ds_write2_b32 v3, v4, v5 offset0:36 offset1:45
	v_pack_b32_f16 v4, v16, v35
	v_cmp_gt_u32_e64 s[0:1], 63, v26
	ds_write_b32 v3, v4 offset:216
	s_waitcnt lgkmcnt(0)
	s_barrier
	s_waitcnt lgkmcnt(0)
                                        ; implicit-def: $vgpr37
                                        ; implicit-def: $vgpr31
                                        ; implicit-def: $vgpr40
                                        ; implicit-def: $vgpr25
                                        ; implicit-def: $vgpr39
                                        ; implicit-def: $vgpr38
	s_and_saveexec_b64 s[2:3], s[0:1]
	s_cbranch_execnz .LBB0_16
; %bb.14:
	s_or_b64 exec, exec, s[2:3]
	s_and_b64 s[0:1], vcc, s[0:1]
	s_and_saveexec_b64 s[2:3], s[0:1]
	s_cbranch_execnz .LBB0_17
.LBB0_15:
	s_endpgm
.LBB0_16:
	ds_read2_b32 v[18:19], v0 offset1:63
	ds_read2_b32 v[22:23], v0 offset0:126 offset1:189
	ds_read2_b32 v[20:21], v2 offset0:124 offset1:187
	;; [unrolled: 1-line block ×3, first 2 shown]
	v_add_u32_e32 v1, 0x800, v0
	v_add_u32_e32 v2, 0x400, v0
	ds_read2_b32 v[24:25], v1 offset0:118 offset1:181
	ds_read2_b32 v[16:17], v2 offset0:122 offset1:185
	ds_read_b32 v31, v0 offset:3024
	s_waitcnt lgkmcnt(6)
	v_lshrrev_b32_e32 v27, 16, v18
	s_waitcnt lgkmcnt(3)
	v_lshrrev_b32_e32 v28, 16, v14
	v_lshrrev_b32_e32 v38, 16, v15
	s_waitcnt lgkmcnt(2)
	v_lshrrev_b32_e32 v39, 16, v24
	v_lshrrev_b32_e32 v40, 16, v25
	s_waitcnt lgkmcnt(0)
	v_lshrrev_b32_e32 v37, 16, v31
	v_lshrrev_b32_e32 v30, 16, v19
	v_lshrrev_b32_e32 v33, 16, v22
	;; [unrolled: 1-line block ×7, first 2 shown]
	s_or_b64 exec, exec, s[2:3]
	s_and_b64 s[0:1], vcc, s[0:1]
	s_and_saveexec_b64 s[2:3], s[0:1]
	s_cbranch_execz .LBB0_15
.LBB0_17:
	v_mul_u32_u24_e32 v0, 12, v26
	v_lshlrev_b32_e32 v41, 2, v0
	global_load_dwordx4 v[0:3], v41, s[8:9] offset:216
	global_load_dwordx4 v[8:11], v41, s[8:9] offset:248
	;; [unrolled: 1-line block ×3, first 2 shown]
	v_mad_u64_u32 v[41:42], s[0:1], s12, v26, 0
	v_mov_b32_e32 v44, s15
	v_add_co_u32_e32 v12, vcc, s14, v12
	v_mad_u64_u32 v[42:43], s[0:1], s13, v26, v[42:43]
	v_addc_co_u32_e32 v13, vcc, v44, v13, vcc
	v_lshlrev_b64 v[41:42], 2, v[41:42]
	s_movk_i32 s5, 0x3b15
	v_add_co_u32_e32 v41, vcc, v12, v41
	v_addc_co_u32_e32 v42, vcc, v13, v42, vcc
	s_movk_i32 s2, 0x2fb7
	s_mov_b32 s4, 0xb5ac
	s_mov_b32 s3, 0xb9fd
	s_movk_i32 s6, 0x394e
	s_mov_b32 s7, 0xbbf1
	s_movk_i32 s8, 0x3a95
	s_mov_b32 s9, 0xb3a8
	s_mov_b32 s10, 0xb770
	s_movk_i32 s11, 0x3b7b
	s_movk_i32 s14, 0x33a8
	s_waitcnt vmcnt(2)
	v_lshrrev_b32_e32 v65, 16, v0
	v_lshrrev_b32_e32 v43, 16, v1
	v_mul_f16_e32 v44, v33, v1
	v_lshrrev_b32_e32 v45, 16, v2
	v_mul_f16_e32 v46, v36, v2
	s_waitcnt vmcnt(1)
	v_lshrrev_b32_e32 v50, 16, v10
	v_mul_f16_e32 v51, v40, v10
	v_lshrrev_b32_e32 v54, 16, v8
	v_mul_f16_e32 v55, v38, v8
	v_mul_f16_e32 v66, v30, v0
	;; [unrolled: 1-line block ×4, first 2 shown]
	v_fma_f16 v43, v22, v43, v44
	v_mul_f16_e32 v36, v36, v45
	v_fma_f16 v44, v23, v45, v46
	v_mul_f16_e32 v40, v40, v50
	;; [unrolled: 2-line block ×3, first 2 shown]
	v_fma_f16 v50, v15, v54, v55
	v_fma_f16 v54, v19, v65, v66
	v_fma_f16 v19, v19, v0, -v30
	v_lshrrev_b32_e32 v47, 16, v3
	v_fma_f16 v22, v22, v1, -v33
	v_add_f16_e32 v1, v18, v19
	v_mul_f16_e32 v48, v32, v3
	s_waitcnt vmcnt(0)
	v_lshrrev_b32_e32 v56, 16, v4
	v_mul_f16_e32 v32, v32, v47
	v_fma_f16 v23, v23, v2, -v36
	v_add_f16_e32 v1, v1, v22
	v_mul_f16_e32 v57, v34, v4
	v_lshrrev_b32_e32 v60, 16, v5
	v_mul_f16_e32 v34, v34, v56
	v_fma_f16 v3, v20, v3, -v32
	v_add_f16_e32 v1, v1, v23
	v_lshrrev_b32_e32 v61, 16, v6
	v_mul_f16_e32 v63, v35, v5
	v_mul_f16_e32 v35, v35, v60
	v_fma_f16 v4, v21, v4, -v34
	v_add_f16_e32 v1, v1, v3
	v_lshrrev_b32_e32 v58, 16, v7
	v_mul_f16_e32 v62, v29, v6
	v_mul_f16_e32 v29, v29, v61
	v_fma_f16 v5, v16, v5, -v35
	v_add_f16_e32 v0, v27, v54
	v_add_f16_e32 v1, v1, v4
	v_mul_f16_e32 v59, v28, v7
	v_mul_f16_e32 v28, v28, v58
	v_fma_f16 v6, v17, v6, -v29
	v_add_f16_e32 v0, v0, v43
	v_add_f16_e32 v1, v1, v5
	v_lshrrev_b32_e32 v52, 16, v9
	v_fma_f16 v47, v20, v47, v48
	v_fma_f16 v7, v14, v7, -v28
	v_add_f16_e32 v0, v0, v44
	v_add_f16_e32 v1, v6, v1
	v_mul_f16_e32 v53, v39, v9
	v_mul_f16_e32 v39, v39, v52
	v_fma_f16 v48, v21, v56, v57
	v_fma_f16 v8, v15, v8, -v38
	v_add_f16_e32 v0, v0, v47
	v_add_f16_e32 v1, v7, v1
	v_lshrrev_b32_e32 v49, 16, v11
	v_fma_f16 v46, v24, v52, v53
	v_fma_f16 v53, v16, v60, v63
	v_fma_f16 v9, v24, v9, -v39
	v_add_f16_e32 v1, v8, v1
	v_add_f16_e32 v0, v0, v48
	v_mul_f16_e32 v64, v37, v11
	v_fma_f16 v52, v17, v61, v62
	v_mul_f16_e32 v37, v37, v49
	v_fma_f16 v10, v25, v10, -v40
	v_add_f16_e32 v1, v9, v1
	v_add_f16_e32 v0, v0, v53
	v_fma_f16 v51, v14, v58, v59
	v_fma_f16 v11, v31, v11, -v37
	v_add_f16_e32 v1, v10, v1
	v_add_f16_e32 v0, v52, v0
	v_add_u32_e32 v15, 63, v26
	v_add_f16_e32 v14, v11, v1
	v_add_f16_e32 v2, v51, v0
	v_mad_u64_u32 v[0:1], s[0:1], s12, v15, 0
	v_add_f16_e32 v2, v50, v2
	v_add_f16_e32 v2, v46, v2
	v_fma_f16 v49, v31, v49, v64
	v_add_f16_e32 v16, v45, v2
	v_mad_u64_u32 v[1:2], s[0:1], s13, v15, v[1:2]
	v_add_f16_e32 v2, v49, v16
	v_pack_b32_f16 v2, v14, v2
	global_store_dword v[41:42], v2, off
	v_sub_f16_e32 v2, v19, v11
	v_add_f16_e32 v14, v49, v54
	v_sub_f16_e32 v16, v22, v10
	v_mul_f16_e32 v31, 0xb770, v2
	v_add_f16_e32 v17, v45, v43
	s_movk_i32 s1, 0x388b
	v_fma_f16 v32, v14, s5, v31
	v_mul_f16_e32 v33, 0xba95, v16
	v_sub_f16_e32 v20, v23, v9
	v_add_f16_e32 v32, v27, v32
	v_fma_f16 v34, v17, s1, v33
	v_add_f16_e32 v21, v46, v44
	v_add_f16_e32 v32, v32, v34
	v_mul_f16_e32 v34, 0xbbf1, v20
	v_add_f16_e32 v9, v9, v23
	v_sub_f16_e32 v23, v3, v8
	v_fma_f16 v35, v21, s2, v34
	v_add_f16_e32 v3, v8, v3
	v_add_f16_e32 v8, v50, v47
	;; [unrolled: 1-line block ×3, first 2 shown]
	v_mul_f16_e32 v35, 0xbb7b, v23
	v_sub_f16_e32 v25, v4, v7
	v_fma_f16 v36, v8, s4, v35
	v_add_f16_e32 v4, v7, v4
	v_add_f16_e32 v7, v51, v48
	;; [unrolled: 1-line block ×3, first 2 shown]
	v_mul_f16_e32 v36, 0xb94e, v25
	v_sub_f16_e32 v29, v5, v6
	v_fma_f16 v37, v7, s3, v36
	v_add_f16_e32 v5, v6, v5
	v_add_f16_e32 v6, v52, v53
	;; [unrolled: 1-line block ×3, first 2 shown]
	s_mov_b32 s0, 0xbbc4
	v_mul_f16_e32 v37, 0xb3a8, v29
	v_sub_f16_e32 v15, v54, v49
	v_fma_f16 v38, v6, s0, v37
	v_add_f16_e32 v11, v11, v19
	v_sub_f16_e32 v19, v43, v45
	v_add_f16_e32 v32, v32, v38
	v_mul_f16_e32 v38, 0xb770, v15
	v_add_f16_e32 v10, v10, v22
	v_fma_f16 v39, v11, s5, -v38
	v_mul_f16_e32 v40, 0xba95, v19
	v_sub_f16_e32 v22, v44, v46
	v_add_f16_e32 v39, v18, v39
	v_fma_f16 v41, v10, s1, -v40
	v_add_f16_e32 v39, v39, v41
	v_mul_f16_e32 v41, 0xbbf1, v22
	v_sub_f16_e32 v24, v47, v50
	v_fma_f16 v42, v9, s2, -v41
	v_add_f16_e32 v39, v39, v42
	v_mul_f16_e32 v42, 0xbb7b, v24
	v_sub_f16_e32 v28, v48, v51
	;; [unrolled: 4-line block ×3, first 2 shown]
	v_fma_f16 v44, v4, s3, -v43
	v_lshlrev_b64 v[0:1], 2, v[0:1]
	v_add_f16_e32 v39, v39, v44
	v_mul_f16_e32 v44, 0xb3a8, v30
	v_fma_f16 v45, v5, s0, -v44
	v_add_co_u32_e32 v0, vcc, v12, v0
	v_add_f16_e32 v39, v39, v45
	v_addc_co_u32_e32 v1, vcc, v13, v1, vcc
	v_pack_b32_f16 v32, v39, v32
	global_store_dword v[0:1], v32, off
	v_mul_f16_e32 v0, 0xb3a8, v15
	v_mul_f16_e32 v32, 0xb94e, v15
	;; [unrolled: 1-line block ×5, first 2 shown]
	v_fma_f16 v1, v11, s0, v0
	v_fma_f16 v0, v11, s0, -v0
	v_fma_f16 v39, v11, s3, v32
	v_fma_f16 v32, v11, s3, -v32
	v_fma_f16 v47, v11, s4, -v45
	v_fma_f16 v45, v11, s4, v45
	v_fma_f16 v48, v11, s2, -v46
	v_fma_f16 v46, v11, s2, v46
	;; [unrolled: 2-line block ×3, first 2 shown]
	v_fma_f16 v11, v11, s5, v38
	v_add_f16_e32 v38, v18, v39
	v_add_f16_e32 v1, v18, v1
	v_add_f16_e32 v0, v18, v0
	v_add_f16_e32 v32, v18, v32
	v_add_f16_e32 v39, v18, v47
	v_add_f16_e32 v47, v18, v48
	v_add_f16_e32 v48, v18, v49
	v_add_f16_e32 v45, v18, v45
	v_add_f16_e32 v46, v18, v46
	v_add_f16_e32 v15, v18, v15
	v_add_f16_e32 v11, v18, v11
	v_mul_f16_e32 v18, 0xb9fd, v14
	v_fma_f16 v49, v2, s6, v18
	v_mul_f16_e32 v50, 0x2fb7, v17
	v_add_f16_e32 v49, v27, v49
	v_fma_f16 v51, v16, s7, v50
	v_add_f16_e32 v49, v49, v51
	v_mul_f16_e32 v51, 0x388b, v21
	v_fma_f16 v52, v20, s8, v51
	v_add_f16_e32 v49, v49, v52
	v_mul_f16_e32 v52, 0xbbc4, v8
	v_fma_f16 v53, v23, s9, v52
	v_add_f16_e32 v49, v49, v53
	v_mul_f16_e32 v53, 0x3b15, v7
	v_fma_f16 v54, v25, s10, v53
	v_add_f16_e32 v49, v49, v54
	v_mul_f16_e32 v54, 0xb5ac, v6
	v_fma_f16 v55, v29, s11, v54
	v_add_f16_e32 v49, v49, v55
	v_mul_f16_e32 v55, 0x3bf1, v19
	v_fma_f16 v56, v10, s2, v55
	v_add_f16_e32 v38, v38, v56
	v_mul_f16_e32 v56, 0xba95, v22
	v_fma_f16 v57, v9, s1, v56
	v_add_f16_e32 v38, v38, v57
	v_mul_f16_e32 v57, 0x33a8, v24
	v_fma_f16 v58, v3, s0, v57
	v_add_f16_e32 v38, v38, v58
	v_mul_f16_e32 v58, 0x3770, v28
	v_fma_f16 v59, v4, s5, v58
	v_add_f16_e32 v38, v38, v59
	v_mul_f16_e32 v59, 0xbb7b, v30
	v_fma_f16 v60, v5, s4, v59
	v_add_f16_e32 v38, v38, v60
	v_mul_f16_e32 v60, 0xbbc4, v14
	v_fma_f16 v61, v2, s14, v60
	v_mul_f16_e32 v62, 0x3b15, v17
	v_add_f16_e32 v61, v27, v61
	v_fma_f16 v63, v16, s10, v62
	v_add_f16_e32 v61, v61, v63
	v_mul_f16_e32 v63, 0xb9fd, v21
	v_fma_f16 v64, v20, s6, v63
	v_add_f16_e32 v61, v61, v64
	s_mov_b32 s6, 0xba95
	v_mul_f16_e32 v64, 0x388b, v8
	v_fma_f16 v65, v23, s6, v64
	v_add_f16_e32 v61, v61, v65
	v_mul_f16_e32 v65, 0xb5ac, v7
	v_fma_f16 v66, v25, s11, v65
	v_add_f16_e32 v61, v61, v66
	;; [unrolled: 3-line block ×8, first 2 shown]
	s_movk_i32 s7, 0x3770
	v_fma_f16 v1, v2, s9, v60
	v_add_f16_e32 v1, v27, v1
	v_fma_f16 v60, v16, s7, v62
	s_mov_b32 s9, 0xb94e
	v_add_f16_e32 v1, v1, v60
	v_fma_f16 v60, v20, s9, v63
	v_add_f16_e32 v1, v1, v60
	v_fma_f16 v60, v23, s8, v64
	s_mov_b32 s8, 0xbb7b
	v_add_f16_e32 v1, v1, v60
	v_fma_f16 v60, v25, s8, v65
	s_movk_i32 s10, 0x3bf1
	v_add_f16_e32 v1, v1, v60
	v_fma_f16 v60, v29, s10, v66
	v_add_f16_e32 v60, v1, v60
	v_fma_f16 v1, v10, s5, -v67
	v_add_f16_e32 v0, v0, v1
	v_fma_f16 v1, v9, s3, -v68
	;; [unrolled: 2-line block ×5, first 2 shown]
	v_add_f16_e32 v62, v0, v1
	v_fma_f16 v0, v2, s9, v18
	v_add_f16_e32 v0, v27, v0
	v_fma_f16 v1, v16, s10, v50
	;; [unrolled: 2-line block ×6, first 2 shown]
	v_add_f16_e32 v18, v0, v1
	v_fma_f16 v0, v10, s2, -v55
	v_add_f16_e32 v0, v32, v0
	v_fma_f16 v1, v9, s1, -v56
	;; [unrolled: 2-line block ×5, first 2 shown]
	v_add_f16_e32 v32, v0, v1
	v_mul_f16_e32 v0, 0xbb7b, v2
	v_fma_f16 v1, v14, s4, v0
	v_mul_f16_e32 v50, 0x394e, v16
	v_add_f16_e32 v1, v27, v1
	v_fma_f16 v51, v17, s3, v50
	v_add_f16_e32 v1, v1, v51
	v_mul_f16_e32 v51, 0x3770, v20
	v_fma_f16 v52, v21, s5, v51
	v_add_f16_e32 v1, v1, v52
	v_mul_f16_e32 v52, 0xbbf1, v23
	v_fma_f16 v53, v8, s2, v52
	v_add_f16_e32 v1, v1, v53
	v_mul_f16_e32 v53, 0x33a8, v25
	v_fma_f16 v54, v7, s0, v53
	v_add_f16_e32 v1, v1, v54
	v_mul_f16_e32 v54, 0x3a95, v29
	v_fma_f16 v55, v6, s1, v54
	v_add_f16_e32 v55, v1, v55
	v_mul_f16_e32 v1, 0x394e, v19
	v_fma_f16 v56, v10, s3, -v1
	v_add_f16_e32 v39, v39, v56
	v_mul_f16_e32 v56, 0x3770, v22
	v_fma_f16 v57, v9, s5, -v56
	v_add_f16_e32 v39, v39, v57
	v_mul_f16_e32 v57, 0xbbf1, v24
	v_fma_f16 v58, v3, s2, -v57
	v_add_f16_e32 v39, v39, v58
	v_mul_f16_e32 v58, 0x33a8, v28
	v_fma_f16 v59, v4, s0, -v58
	v_add_f16_e32 v39, v39, v59
	v_mul_f16_e32 v59, 0x3a95, v30
	v_fma_f16 v63, v5, s1, -v59
	v_fma_f16 v0, v14, s4, -v0
	v_add_f16_e32 v39, v39, v63
	v_mul_f16_e32 v63, 0xbbf1, v2
	v_add_f16_e32 v0, v27, v0
	v_fma_f16 v50, v17, s3, -v50
	v_fma_f16 v64, v14, s2, v63
	v_mul_f16_e32 v65, 0xb3a8, v16
	v_add_f16_e32 v0, v0, v50
	v_fma_f16 v50, v21, s5, -v51
	v_add_f16_e32 v64, v27, v64
	v_fma_f16 v66, v17, s0, v65
	v_add_f16_e32 v0, v0, v50
	v_fma_f16 v50, v8, s2, -v52
	v_add_f16_e32 v64, v64, v66
	v_mul_f16_e32 v66, 0x3b7b, v20
	v_add_f16_e32 v0, v0, v50
	v_fma_f16 v50, v7, s0, -v53
	v_fma_f16 v67, v21, s4, v66
	v_add_f16_e32 v0, v0, v50
	v_fma_f16 v50, v6, s1, -v54
	v_add_f16_e32 v64, v64, v67
	v_mul_f16_e32 v67, 0x3770, v23
	v_add_f16_e32 v50, v0, v50
	v_fma_f16 v0, v10, s3, v1
	v_fma_f16 v68, v8, s5, v67
	v_add_f16_e32 v0, v45, v0
	v_fma_f16 v1, v9, s5, v56
	v_add_f16_e32 v64, v64, v68
	v_mul_f16_e32 v68, 0xba95, v25
	v_add_f16_e32 v0, v0, v1
	v_fma_f16 v1, v3, s2, v57
	v_fma_f16 v69, v7, s1, v68
	v_add_f16_e32 v0, v0, v1
	v_fma_f16 v1, v4, s0, v58
	v_add_f16_e32 v64, v64, v69
	v_mul_f16_e32 v69, 0xb94e, v29
	v_add_f16_e32 v0, v0, v1
	v_fma_f16 v1, v5, s1, v59
	v_fma_f16 v70, v6, s3, v69
	v_add_f16_e32 v45, v0, v1
	v_fma_f16 v0, v14, s2, -v63
	v_add_f16_e32 v64, v64, v70
	v_mul_f16_e32 v70, 0xb3a8, v19
	v_add_f16_e32 v0, v27, v0
	v_fma_f16 v1, v17, s0, -v65
	v_fma_f16 v71, v10, s0, -v70
	v_add_f16_e32 v0, v0, v1
	v_fma_f16 v1, v21, s4, -v66
	v_add_f16_e32 v47, v47, v71
	v_mul_f16_e32 v71, 0x3b7b, v22
	v_add_f16_e32 v0, v0, v1
	v_fma_f16 v1, v8, s5, -v67
	v_fma_f16 v73, v9, s4, -v71
	;; [unrolled: 7-line block ×3, first 2 shown]
	v_add_f16_e32 v51, v0, v1
	v_fma_f16 v0, v10, s0, v70
	v_add_f16_e32 v47, v47, v74
	v_mul_f16_e32 v74, 0xba95, v28
	v_add_f16_e32 v0, v46, v0
	v_fma_f16 v1, v9, s4, v71
	v_fma_f16 v75, v4, s1, -v74
	v_add_f16_e32 v0, v0, v1
	v_fma_f16 v1, v3, s5, v73
	v_add_f16_e32 v47, v47, v75
	v_mul_f16_e32 v75, 0xb94e, v30
	v_add_f16_e32 v0, v0, v1
	v_fma_f16 v1, v4, s1, v74
	v_mul_f16_e32 v2, 0xba95, v2
	v_add_f16_e32 v0, v0, v1
	v_fma_f16 v1, v5, s3, v75
	v_mul_f16_e32 v16, 0xbb7b, v16
	v_add_f16_e32 v46, v0, v1
	v_fma_f16 v0, v14, s1, -v2
	v_mul_f16_e32 v20, 0xb3a8, v20
	v_add_f16_e32 v0, v27, v0
	v_fma_f16 v1, v17, s4, -v16
	;; [unrolled: 3-line block ×6, first 2 shown]
	v_fma_f16 v77, v17, s4, v16
	v_mul_f16_e32 v22, 0xb3a8, v22
	v_add_f16_e32 v16, v0, v1
	v_fma_f16 v0, v10, s4, v19
	v_mul_f16_e32 v24, 0x394e, v24
	v_add_f16_e32 v0, v15, v0
	;; [unrolled: 3-line block ×4, first 2 shown]
	v_fma_f16 v1, v4, s2, v28
	v_add_f16_e32 v0, v0, v1
	v_fma_f16 v1, v5, s5, v30
	v_fma_f16 v76, v5, s3, -v75
	v_add_f16_e32 v15, v0, v1
	v_fma_f16 v0, v14, s5, -v31
	v_add_f16_e32 v47, v47, v76
	v_fma_f16 v76, v14, s1, v2
	v_add_f16_e32 v0, v27, v0
	v_fma_f16 v1, v17, s1, -v33
	v_add_f16_e32 v76, v27, v76
	v_add_f16_e32 v0, v0, v1
	v_fma_f16 v1, v21, s2, -v34
	v_add_f16_e32 v76, v76, v77
	v_fma_f16 v77, v21, s0, v20
	v_add_f16_e32 v0, v0, v1
	v_fma_f16 v1, v8, s4, -v35
	v_add_f16_e32 v76, v76, v77
	v_fma_f16 v77, v8, s3, v23
	;; [unrolled: 4-line block ×4, first 2 shown]
	v_add_f16_e32 v6, v0, v1
	v_fma_f16 v0, v10, s1, v40
	v_add_u32_e32 v7, 0x7e, v26
	v_add_f16_e32 v76, v76, v77
	v_fma_f16 v77, v10, s4, -v19
	v_add_f16_e32 v2, v11, v0
	v_mad_u64_u32 v[0:1], s[6:7], s12, v7, 0
	v_add_f16_e32 v48, v48, v77
	v_fma_f16 v77, v9, s0, -v22
	v_add_f16_e32 v48, v48, v77
	v_fma_f16 v77, v3, s3, -v24
	v_add_f16_e32 v48, v48, v77
	v_fma_f16 v77, v4, s2, -v28
	v_fma_f16 v8, v9, s2, v41
	v_add_f16_e32 v48, v48, v77
	v_fma_f16 v77, v5, s5, -v30
	v_add_f16_e32 v8, v2, v8
	v_fma_f16 v3, v3, s4, v42
	v_mad_u64_u32 v[1:2], s[4:5], s13, v7, v[1:2]
	v_add_f16_e32 v2, v8, v3
	v_fma_f16 v3, v4, s3, v43
	v_add_u32_e32 v4, 0xbd, v26
	v_add_f16_e32 v7, v2, v3
	v_lshlrev_b64 v[0:1], 2, v[0:1]
	v_mad_u64_u32 v[2:3], s[2:3], s12, v4, 0
	v_add_f16_e32 v48, v48, v77
	v_add_co_u32_e32 v0, vcc, v12, v0
	v_addc_co_u32_e32 v1, vcc, v13, v1, vcc
	v_fma_f16 v8, v5, s0, v44
	v_pack_b32_f16 v5, v48, v76
	global_store_dword v[0:1], v5, off
	v_mov_b32_e32 v0, v3
	v_mad_u64_u32 v[0:1], s[0:1], s13, v4, v[0:1]
	v_add_u32_e32 v9, 0xfc, v26
	v_mad_u64_u32 v[4:5], s[0:1], s12, v9, 0
	v_mov_b32_e32 v3, v0
	v_lshlrev_b64 v[0:1], 2, v[2:3]
	v_mov_b32_e32 v2, v5
	v_mad_u64_u32 v[2:3], s[0:1], s13, v9, v[2:3]
	v_add_co_u32_e32 v0, vcc, v12, v0
	v_addc_co_u32_e32 v1, vcc, v13, v1, vcc
	v_pack_b32_f16 v3, v47, v64
	v_mov_b32_e32 v5, v2
	global_store_dword v[0:1], v3, off
	v_lshlrev_b64 v[0:1], 2, v[4:5]
	v_add_u32_e32 v4, 0x13b, v26
	v_mad_u64_u32 v[2:3], s[0:1], s12, v4, 0
	v_add_u32_e32 v9, 0x17a, v26
	v_add_co_u32_e32 v0, vcc, v12, v0
	v_mad_u64_u32 v[3:4], s[0:1], s13, v4, v[3:4]
	v_mad_u64_u32 v[4:5], s[0:1], s12, v9, 0
	v_add_f16_e32 v7, v7, v8
	v_addc_co_u32_e32 v1, vcc, v13, v1, vcc
	v_pack_b32_f16 v8, v39, v55
	global_store_dword v[0:1], v8, off
	v_lshlrev_b64 v[0:1], 2, v[2:3]
	v_mov_b32_e32 v2, v5
	v_mad_u64_u32 v[2:3], s[0:1], s13, v9, v[2:3]
	v_add_co_u32_e32 v0, vcc, v12, v0
	v_addc_co_u32_e32 v1, vcc, v13, v1, vcc
	v_pack_b32_f16 v3, v32, v18
	v_mov_b32_e32 v5, v2
	global_store_dword v[0:1], v3, off
	v_lshlrev_b64 v[0:1], 2, v[4:5]
	v_add_u32_e32 v4, 0x1b9, v26
	v_mad_u64_u32 v[2:3], s[0:1], s12, v4, 0
	v_add_u32_e32 v9, 0x1f8, v26
	v_add_co_u32_e32 v0, vcc, v12, v0
	v_mad_u64_u32 v[3:4], s[0:1], s13, v4, v[3:4]
	v_mad_u64_u32 v[4:5], s[0:1], s12, v9, 0
	v_addc_co_u32_e32 v1, vcc, v13, v1, vcc
	v_pack_b32_f16 v8, v62, v60
	global_store_dword v[0:1], v8, off
	v_lshlrev_b64 v[0:1], 2, v[2:3]
	v_mov_b32_e32 v2, v5
	v_mad_u64_u32 v[2:3], s[0:1], s13, v9, v[2:3]
	v_add_co_u32_e32 v0, vcc, v12, v0
	v_addc_co_u32_e32 v1, vcc, v13, v1, vcc
	v_pack_b32_f16 v3, v72, v61
	v_mov_b32_e32 v5, v2
	global_store_dword v[0:1], v3, off
	v_lshlrev_b64 v[0:1], 2, v[4:5]
	v_add_u32_e32 v4, 0x237, v26
	v_mad_u64_u32 v[2:3], s[0:1], s12, v4, 0
	v_add_u32_e32 v9, 0x276, v26
	v_add_co_u32_e32 v0, vcc, v12, v0
	v_mad_u64_u32 v[3:4], s[0:1], s13, v4, v[3:4]
	v_mad_u64_u32 v[4:5], s[0:1], s12, v9, 0
	;; [unrolled: 18-line block ×3, first 2 shown]
	v_addc_co_u32_e32 v1, vcc, v13, v1, vcc
	v_pack_b32_f16 v8, v46, v51
	global_store_dword v[0:1], v8, off
	v_lshlrev_b64 v[0:1], 2, v[2:3]
	v_mov_b32_e32 v2, v5
	v_mad_u64_u32 v[2:3], s[0:1], s13, v9, v[2:3]
	v_add_co_u32_e32 v0, vcc, v12, v0
	v_addc_co_u32_e32 v1, vcc, v13, v1, vcc
	v_pack_b32_f16 v3, v15, v16
	v_mov_b32_e32 v5, v2
	global_store_dword v[0:1], v3, off
	v_lshlrev_b64 v[0:1], 2, v[4:5]
	v_pack_b32_f16 v2, v7, v6
	v_add_co_u32_e32 v0, vcc, v12, v0
	v_addc_co_u32_e32 v1, vcc, v13, v1, vcc
	global_store_dword v[0:1], v2, off
	s_endpgm
	.section	.rodata,"a",@progbits
	.p2align	6, 0x0
	.amdhsa_kernel fft_rtc_fwd_len819_factors_9_7_13_wgs_117_tpt_117_half_ip_CI_sbrr_dirReg
		.amdhsa_group_segment_fixed_size 0
		.amdhsa_private_segment_fixed_size 0
		.amdhsa_kernarg_size 88
		.amdhsa_user_sgpr_count 6
		.amdhsa_user_sgpr_private_segment_buffer 1
		.amdhsa_user_sgpr_dispatch_ptr 0
		.amdhsa_user_sgpr_queue_ptr 0
		.amdhsa_user_sgpr_kernarg_segment_ptr 1
		.amdhsa_user_sgpr_dispatch_id 0
		.amdhsa_user_sgpr_flat_scratch_init 0
		.amdhsa_user_sgpr_private_segment_size 0
		.amdhsa_uses_dynamic_stack 0
		.amdhsa_system_sgpr_private_segment_wavefront_offset 0
		.amdhsa_system_sgpr_workgroup_id_x 1
		.amdhsa_system_sgpr_workgroup_id_y 0
		.amdhsa_system_sgpr_workgroup_id_z 0
		.amdhsa_system_sgpr_workgroup_info 0
		.amdhsa_system_vgpr_workitem_id 0
		.amdhsa_next_free_vgpr 78
		.amdhsa_next_free_sgpr 24
		.amdhsa_reserve_vcc 1
		.amdhsa_reserve_flat_scratch 0
		.amdhsa_float_round_mode_32 0
		.amdhsa_float_round_mode_16_64 0
		.amdhsa_float_denorm_mode_32 3
		.amdhsa_float_denorm_mode_16_64 3
		.amdhsa_dx10_clamp 1
		.amdhsa_ieee_mode 1
		.amdhsa_fp16_overflow 0
		.amdhsa_exception_fp_ieee_invalid_op 0
		.amdhsa_exception_fp_denorm_src 0
		.amdhsa_exception_fp_ieee_div_zero 0
		.amdhsa_exception_fp_ieee_overflow 0
		.amdhsa_exception_fp_ieee_underflow 0
		.amdhsa_exception_fp_ieee_inexact 0
		.amdhsa_exception_int_div_zero 0
	.end_amdhsa_kernel
	.text
.Lfunc_end0:
	.size	fft_rtc_fwd_len819_factors_9_7_13_wgs_117_tpt_117_half_ip_CI_sbrr_dirReg, .Lfunc_end0-fft_rtc_fwd_len819_factors_9_7_13_wgs_117_tpt_117_half_ip_CI_sbrr_dirReg
                                        ; -- End function
	.section	.AMDGPU.csdata,"",@progbits
; Kernel info:
; codeLenInByte = 7412
; NumSgprs: 28
; NumVgprs: 78
; ScratchSize: 0
; MemoryBound: 0
; FloatMode: 240
; IeeeMode: 1
; LDSByteSize: 0 bytes/workgroup (compile time only)
; SGPRBlocks: 3
; VGPRBlocks: 19
; NumSGPRsForWavesPerEU: 28
; NumVGPRsForWavesPerEU: 78
; Occupancy: 3
; WaveLimiterHint : 1
; COMPUTE_PGM_RSRC2:SCRATCH_EN: 0
; COMPUTE_PGM_RSRC2:USER_SGPR: 6
; COMPUTE_PGM_RSRC2:TRAP_HANDLER: 0
; COMPUTE_PGM_RSRC2:TGID_X_EN: 1
; COMPUTE_PGM_RSRC2:TGID_Y_EN: 0
; COMPUTE_PGM_RSRC2:TGID_Z_EN: 0
; COMPUTE_PGM_RSRC2:TIDIG_COMP_CNT: 0
	.type	__hip_cuid_f9f756a6bc4699e,@object ; @__hip_cuid_f9f756a6bc4699e
	.section	.bss,"aw",@nobits
	.globl	__hip_cuid_f9f756a6bc4699e
__hip_cuid_f9f756a6bc4699e:
	.byte	0                               ; 0x0
	.size	__hip_cuid_f9f756a6bc4699e, 1

	.ident	"AMD clang version 19.0.0git (https://github.com/RadeonOpenCompute/llvm-project roc-6.4.0 25133 c7fe45cf4b819c5991fe208aaa96edf142730f1d)"
	.section	".note.GNU-stack","",@progbits
	.addrsig
	.addrsig_sym __hip_cuid_f9f756a6bc4699e
	.amdgpu_metadata
---
amdhsa.kernels:
  - .args:
      - .actual_access:  read_only
        .address_space:  global
        .offset:         0
        .size:           8
        .value_kind:     global_buffer
      - .offset:         8
        .size:           8
        .value_kind:     by_value
      - .actual_access:  read_only
        .address_space:  global
        .offset:         16
        .size:           8
        .value_kind:     global_buffer
      - .actual_access:  read_only
        .address_space:  global
        .offset:         24
        .size:           8
        .value_kind:     global_buffer
      - .offset:         32
        .size:           8
        .value_kind:     by_value
      - .actual_access:  read_only
        .address_space:  global
        .offset:         40
        .size:           8
        .value_kind:     global_buffer
      - .actual_access:  read_only
        .address_space:  global
        .offset:         48
        .size:           8
        .value_kind:     global_buffer
      - .offset:         56
        .size:           4
        .value_kind:     by_value
      - .actual_access:  read_only
        .address_space:  global
        .offset:         64
        .size:           8
        .value_kind:     global_buffer
      - .actual_access:  read_only
        .address_space:  global
        .offset:         72
        .size:           8
        .value_kind:     global_buffer
      - .address_space:  global
        .offset:         80
        .size:           8
        .value_kind:     global_buffer
    .group_segment_fixed_size: 0
    .kernarg_segment_align: 8
    .kernarg_segment_size: 88
    .language:       OpenCL C
    .language_version:
      - 2
      - 0
    .max_flat_workgroup_size: 117
    .name:           fft_rtc_fwd_len819_factors_9_7_13_wgs_117_tpt_117_half_ip_CI_sbrr_dirReg
    .private_segment_fixed_size: 0
    .sgpr_count:     28
    .sgpr_spill_count: 0
    .symbol:         fft_rtc_fwd_len819_factors_9_7_13_wgs_117_tpt_117_half_ip_CI_sbrr_dirReg.kd
    .uniform_work_group_size: 1
    .uses_dynamic_stack: false
    .vgpr_count:     78
    .vgpr_spill_count: 0
    .wavefront_size: 64
amdhsa.target:   amdgcn-amd-amdhsa--gfx906
amdhsa.version:
  - 1
  - 2
...

	.end_amdgpu_metadata
